;; amdgpu-corpus repo=ROCm/rocFFT kind=compiled arch=gfx906 opt=O3
	.text
	.amdgcn_target "amdgcn-amd-amdhsa--gfx906"
	.amdhsa_code_object_version 6
	.protected	fft_rtc_back_len1944_factors_3_3_3_3_8_3_wgs_243_tpt_243_halfLds_dp_ip_CI_unitstride_sbrr_R2C_dirReg ; -- Begin function fft_rtc_back_len1944_factors_3_3_3_3_8_3_wgs_243_tpt_243_halfLds_dp_ip_CI_unitstride_sbrr_R2C_dirReg
	.globl	fft_rtc_back_len1944_factors_3_3_3_3_8_3_wgs_243_tpt_243_halfLds_dp_ip_CI_unitstride_sbrr_R2C_dirReg
	.p2align	8
	.type	fft_rtc_back_len1944_factors_3_3_3_3_8_3_wgs_243_tpt_243_halfLds_dp_ip_CI_unitstride_sbrr_R2C_dirReg,@function
fft_rtc_back_len1944_factors_3_3_3_3_8_3_wgs_243_tpt_243_halfLds_dp_ip_CI_unitstride_sbrr_R2C_dirReg: ; @fft_rtc_back_len1944_factors_3_3_3_3_8_3_wgs_243_tpt_243_halfLds_dp_ip_CI_unitstride_sbrr_R2C_dirReg
; %bb.0:
	s_load_dwordx2 s[12:13], s[4:5], 0x50
	s_load_dwordx4 s[8:11], s[4:5], 0x0
	s_load_dwordx2 s[2:3], s[4:5], 0x18
	v_mul_u32_u24_e32 v1, 0x10e, v0
	v_add_u32_sdwa v5, s6, v1 dst_sel:DWORD dst_unused:UNUSED_PAD src0_sel:DWORD src1_sel:WORD_1
	v_mov_b32_e32 v3, 0
	s_waitcnt lgkmcnt(0)
	v_cmp_lt_u64_e64 s[0:1], s[10:11], 2
	v_mov_b32_e32 v1, 0
	v_mov_b32_e32 v6, v3
	s_and_b64 vcc, exec, s[0:1]
	v_mov_b32_e32 v2, 0
	s_cbranch_vccnz .LBB0_8
; %bb.1:
	s_load_dwordx2 s[0:1], s[4:5], 0x10
	s_add_u32 s6, s2, 8
	s_addc_u32 s7, s3, 0
	v_mov_b32_e32 v1, 0
	v_mov_b32_e32 v2, 0
	s_waitcnt lgkmcnt(0)
	s_add_u32 s14, s0, 8
	s_addc_u32 s15, s1, 0
	s_mov_b64 s[16:17], 1
.LBB0_2:                                ; =>This Inner Loop Header: Depth=1
	s_load_dwordx2 s[18:19], s[14:15], 0x0
                                        ; implicit-def: $vgpr7_vgpr8
	s_waitcnt lgkmcnt(0)
	v_or_b32_e32 v4, s19, v6
	v_cmp_ne_u64_e32 vcc, 0, v[3:4]
	s_and_saveexec_b64 s[0:1], vcc
	s_xor_b64 s[20:21], exec, s[0:1]
	s_cbranch_execz .LBB0_4
; %bb.3:                                ;   in Loop: Header=BB0_2 Depth=1
	v_cvt_f32_u32_e32 v4, s18
	v_cvt_f32_u32_e32 v7, s19
	s_sub_u32 s0, 0, s18
	s_subb_u32 s1, 0, s19
	v_mac_f32_e32 v4, 0x4f800000, v7
	v_rcp_f32_e32 v4, v4
	v_mul_f32_e32 v4, 0x5f7ffffc, v4
	v_mul_f32_e32 v7, 0x2f800000, v4
	v_trunc_f32_e32 v7, v7
	v_mac_f32_e32 v4, 0xcf800000, v7
	v_cvt_u32_f32_e32 v7, v7
	v_cvt_u32_f32_e32 v4, v4
	v_mul_lo_u32 v8, s0, v7
	v_mul_hi_u32 v9, s0, v4
	v_mul_lo_u32 v11, s1, v4
	v_mul_lo_u32 v10, s0, v4
	v_add_u32_e32 v8, v9, v8
	v_add_u32_e32 v8, v8, v11
	v_mul_hi_u32 v9, v4, v10
	v_mul_lo_u32 v11, v4, v8
	v_mul_hi_u32 v13, v4, v8
	v_mul_hi_u32 v12, v7, v10
	v_mul_lo_u32 v10, v7, v10
	v_mul_hi_u32 v14, v7, v8
	v_add_co_u32_e32 v9, vcc, v9, v11
	v_addc_co_u32_e32 v11, vcc, 0, v13, vcc
	v_mul_lo_u32 v8, v7, v8
	v_add_co_u32_e32 v9, vcc, v9, v10
	v_addc_co_u32_e32 v9, vcc, v11, v12, vcc
	v_addc_co_u32_e32 v10, vcc, 0, v14, vcc
	v_add_co_u32_e32 v8, vcc, v9, v8
	v_addc_co_u32_e32 v9, vcc, 0, v10, vcc
	v_add_co_u32_e32 v4, vcc, v4, v8
	v_addc_co_u32_e32 v7, vcc, v7, v9, vcc
	v_mul_lo_u32 v8, s0, v7
	v_mul_hi_u32 v9, s0, v4
	v_mul_lo_u32 v10, s1, v4
	v_mul_lo_u32 v11, s0, v4
	v_add_u32_e32 v8, v9, v8
	v_add_u32_e32 v8, v8, v10
	v_mul_lo_u32 v12, v4, v8
	v_mul_hi_u32 v13, v4, v11
	v_mul_hi_u32 v14, v4, v8
	;; [unrolled: 1-line block ×3, first 2 shown]
	v_mul_lo_u32 v11, v7, v11
	v_mul_hi_u32 v9, v7, v8
	v_add_co_u32_e32 v12, vcc, v13, v12
	v_addc_co_u32_e32 v13, vcc, 0, v14, vcc
	v_mul_lo_u32 v8, v7, v8
	v_add_co_u32_e32 v11, vcc, v12, v11
	v_addc_co_u32_e32 v10, vcc, v13, v10, vcc
	v_addc_co_u32_e32 v9, vcc, 0, v9, vcc
	v_add_co_u32_e32 v8, vcc, v10, v8
	v_addc_co_u32_e32 v9, vcc, 0, v9, vcc
	v_add_co_u32_e32 v4, vcc, v4, v8
	v_addc_co_u32_e32 v9, vcc, v7, v9, vcc
	v_mad_u64_u32 v[7:8], s[0:1], v5, v9, 0
	v_mul_hi_u32 v10, v5, v4
	v_add_co_u32_e32 v11, vcc, v10, v7
	v_addc_co_u32_e32 v12, vcc, 0, v8, vcc
	v_mad_u64_u32 v[7:8], s[0:1], v6, v4, 0
	v_mad_u64_u32 v[9:10], s[0:1], v6, v9, 0
	v_add_co_u32_e32 v4, vcc, v11, v7
	v_addc_co_u32_e32 v4, vcc, v12, v8, vcc
	v_addc_co_u32_e32 v7, vcc, 0, v10, vcc
	v_add_co_u32_e32 v4, vcc, v4, v9
	v_addc_co_u32_e32 v9, vcc, 0, v7, vcc
	v_mul_lo_u32 v10, s19, v4
	v_mul_lo_u32 v11, s18, v9
	v_mad_u64_u32 v[7:8], s[0:1], s18, v4, 0
	v_add3_u32 v8, v8, v11, v10
	v_sub_u32_e32 v10, v6, v8
	v_mov_b32_e32 v11, s19
	v_sub_co_u32_e32 v7, vcc, v5, v7
	v_subb_co_u32_e64 v10, s[0:1], v10, v11, vcc
	v_subrev_co_u32_e64 v11, s[0:1], s18, v7
	v_subbrev_co_u32_e64 v10, s[0:1], 0, v10, s[0:1]
	v_cmp_le_u32_e64 s[0:1], s19, v10
	v_cndmask_b32_e64 v12, 0, -1, s[0:1]
	v_cmp_le_u32_e64 s[0:1], s18, v11
	v_cndmask_b32_e64 v11, 0, -1, s[0:1]
	v_cmp_eq_u32_e64 s[0:1], s19, v10
	v_cndmask_b32_e64 v10, v12, v11, s[0:1]
	v_add_co_u32_e64 v11, s[0:1], 2, v4
	v_addc_co_u32_e64 v12, s[0:1], 0, v9, s[0:1]
	v_add_co_u32_e64 v13, s[0:1], 1, v4
	v_addc_co_u32_e64 v14, s[0:1], 0, v9, s[0:1]
	v_subb_co_u32_e32 v8, vcc, v6, v8, vcc
	v_cmp_ne_u32_e64 s[0:1], 0, v10
	v_cmp_le_u32_e32 vcc, s19, v8
	v_cndmask_b32_e64 v10, v14, v12, s[0:1]
	v_cndmask_b32_e64 v12, 0, -1, vcc
	v_cmp_le_u32_e32 vcc, s18, v7
	v_cndmask_b32_e64 v7, 0, -1, vcc
	v_cmp_eq_u32_e32 vcc, s19, v8
	v_cndmask_b32_e32 v7, v12, v7, vcc
	v_cmp_ne_u32_e32 vcc, 0, v7
	v_cndmask_b32_e64 v7, v13, v11, s[0:1]
	v_cndmask_b32_e32 v8, v9, v10, vcc
	v_cndmask_b32_e32 v7, v4, v7, vcc
.LBB0_4:                                ;   in Loop: Header=BB0_2 Depth=1
	s_andn2_saveexec_b64 s[0:1], s[20:21]
	s_cbranch_execz .LBB0_6
; %bb.5:                                ;   in Loop: Header=BB0_2 Depth=1
	v_cvt_f32_u32_e32 v4, s18
	s_sub_i32 s20, 0, s18
	v_rcp_iflag_f32_e32 v4, v4
	v_mul_f32_e32 v4, 0x4f7ffffe, v4
	v_cvt_u32_f32_e32 v4, v4
	v_mul_lo_u32 v7, s20, v4
	v_mul_hi_u32 v7, v4, v7
	v_add_u32_e32 v4, v4, v7
	v_mul_hi_u32 v4, v5, v4
	v_mul_lo_u32 v7, v4, s18
	v_add_u32_e32 v8, 1, v4
	v_sub_u32_e32 v7, v5, v7
	v_subrev_u32_e32 v9, s18, v7
	v_cmp_le_u32_e32 vcc, s18, v7
	v_cndmask_b32_e32 v7, v7, v9, vcc
	v_cndmask_b32_e32 v4, v4, v8, vcc
	v_add_u32_e32 v8, 1, v4
	v_cmp_le_u32_e32 vcc, s18, v7
	v_cndmask_b32_e32 v7, v4, v8, vcc
	v_mov_b32_e32 v8, v3
.LBB0_6:                                ;   in Loop: Header=BB0_2 Depth=1
	s_or_b64 exec, exec, s[0:1]
	v_mul_lo_u32 v4, v8, s18
	v_mul_lo_u32 v11, v7, s19
	v_mad_u64_u32 v[9:10], s[0:1], v7, s18, 0
	s_load_dwordx2 s[0:1], s[6:7], 0x0
	s_add_u32 s16, s16, 1
	v_add3_u32 v4, v10, v11, v4
	v_sub_co_u32_e32 v5, vcc, v5, v9
	v_subb_co_u32_e32 v4, vcc, v6, v4, vcc
	s_waitcnt lgkmcnt(0)
	v_mul_lo_u32 v4, s0, v4
	v_mul_lo_u32 v6, s1, v5
	v_mad_u64_u32 v[1:2], s[0:1], s0, v5, v[1:2]
	s_addc_u32 s17, s17, 0
	s_add_u32 s6, s6, 8
	v_add3_u32 v2, v6, v2, v4
	v_mov_b32_e32 v4, s10
	v_mov_b32_e32 v5, s11
	s_addc_u32 s7, s7, 0
	v_cmp_ge_u64_e32 vcc, s[16:17], v[4:5]
	s_add_u32 s14, s14, 8
	s_addc_u32 s15, s15, 0
	s_cbranch_vccnz .LBB0_9
; %bb.7:                                ;   in Loop: Header=BB0_2 Depth=1
	v_mov_b32_e32 v5, v7
	v_mov_b32_e32 v6, v8
	s_branch .LBB0_2
.LBB0_8:
	v_mov_b32_e32 v8, v6
	v_mov_b32_e32 v7, v5
.LBB0_9:
	s_lshl_b64 s[0:1], s[10:11], 3
	s_add_u32 s0, s2, s0
	s_addc_u32 s1, s3, s1
	s_load_dwordx2 s[2:3], s[0:1], 0x0
	s_load_dwordx2 s[6:7], s[4:5], 0x20
                                        ; implicit-def: $vgpr42
                                        ; implicit-def: $vgpr44
	s_waitcnt lgkmcnt(0)
	v_mad_u64_u32 v[1:2], s[0:1], s2, v7, v[1:2]
	s_mov_b32 s0, 0x10db20b
	v_mul_lo_u32 v3, s2, v8
	v_mul_lo_u32 v4, s3, v7
	v_mul_hi_u32 v5, v0, s0
	v_cmp_gt_u64_e64 s[0:1], s[6:7], v[7:8]
	v_cmp_le_u64_e32 vcc, s[6:7], v[7:8]
	v_add3_u32 v2, v4, v2, v3
	v_mul_u32_u24_e32 v3, 0xf3, v5
	v_sub_u32_e32 v38, v0, v3
	s_and_saveexec_b64 s[2:3], vcc
	s_xor_b64 s[2:3], exec, s[2:3]
; %bb.10:
	v_add_u32_e32 v42, 0xf3, v38
	v_add_u32_e32 v44, 0x1e6, v38
; %bb.11:
	s_or_saveexec_b64 s[2:3], s[2:3]
	v_lshlrev_b64 v[40:41], 4, v[1:2]
	v_lshl_add_u32 v46, v38, 4, 0
	s_xor_b64 exec, exec, s[2:3]
	s_cbranch_execz .LBB0_13
; %bb.12:
	v_mov_b32_e32 v39, 0
	v_mov_b32_e32 v0, s13
	v_add_co_u32_e32 v2, vcc, s12, v40
	v_addc_co_u32_e32 v3, vcc, v0, v41, vcc
	v_lshlrev_b64 v[0:1], 4, v[38:39]
	s_movk_i32 s4, 0x1000
	v_add_co_u32_e32 v24, vcc, v2, v0
	v_addc_co_u32_e32 v25, vcc, v3, v1, vcc
	v_add_co_u32_e32 v16, vcc, s4, v24
	v_addc_co_u32_e32 v17, vcc, 0, v25, vcc
	s_movk_i32 s4, 0x2000
	v_add_co_u32_e32 v18, vcc, s4, v24
	v_addc_co_u32_e32 v19, vcc, 0, v25, vcc
	s_movk_i32 s4, 0x3000
	;; [unrolled: 3-line block ×3, first 2 shown]
	v_add_co_u32_e32 v28, vcc, s4, v24
	v_addc_co_u32_e32 v29, vcc, 0, v25, vcc
	v_add_co_u32_e32 v32, vcc, 0x5000, v24
	v_addc_co_u32_e32 v33, vcc, 0, v25, vcc
	v_add_co_u32_e32 v34, vcc, 0x6000, v24
	global_load_dwordx4 v[0:3], v[24:25], off
	global_load_dwordx4 v[4:7], v[24:25], off offset:3888
	global_load_dwordx4 v[8:11], v[16:17], off offset:3680
	;; [unrolled: 1-line block ×3, first 2 shown]
	s_nop 0
	global_load_dwordx4 v[16:19], v[26:27], off offset:3264
	global_load_dwordx4 v[20:23], v[28:29], off offset:3056
	v_addc_co_u32_e32 v35, vcc, 0, v25, vcc
	global_load_dwordx4 v[24:27], v[32:33], off offset:2848
	global_load_dwordx4 v[28:31], v[34:35], off offset:2640
	v_add_u32_e32 v42, 0xf3, v38
	v_add_u32_e32 v44, 0x1e6, v38
	s_waitcnt vmcnt(7)
	ds_write_b128 v46, v[0:3]
	s_waitcnt vmcnt(6)
	ds_write_b128 v46, v[4:7] offset:3888
	s_waitcnt vmcnt(5)
	ds_write_b128 v46, v[8:11] offset:7776
	;; [unrolled: 2-line block ×7, first 2 shown]
.LBB0_13:
	s_or_b64 exec, exec, s[2:3]
	s_waitcnt lgkmcnt(0)
	s_barrier
	ds_read_b128 v[0:3], v46 offset:10368
	ds_read_b128 v[4:7], v46
	ds_read_b128 v[8:11], v46 offset:3888
	ds_read_b128 v[12:15], v46 offset:7776
	;; [unrolled: 1-line block ×6, first 2 shown]
	s_mov_b32 s2, 0xe8584caa
	s_waitcnt lgkmcnt(6)
	v_add_f64 v[34:35], v[6:7], v[2:3]
	s_waitcnt lgkmcnt(3)
	v_add_f64 v[47:48], v[10:11], v[18:19]
	v_add_f64 v[32:33], v[4:5], v[0:1]
	;; [unrolled: 1-line block ×3, first 2 shown]
	s_waitcnt lgkmcnt(2)
	v_add_f64 v[51:52], v[0:1], v[20:21]
	v_add_f64 v[55:56], v[2:3], v[22:23]
	v_add_f64 v[53:54], v[2:3], -v[22:23]
	v_add_f64 v[57:58], v[0:1], -v[20:21]
	v_add_f64 v[34:35], v[34:35], v[22:23]
	s_waitcnt lgkmcnt(1)
	v_add_f64 v[22:23], v[47:48], v[26:27]
	ds_read_b128 v[47:50], v46 offset:28512
	v_add_f64 v[32:33], v[32:33], v[20:21]
	v_add_f64 v[20:21], v[36:37], v[24:25]
	s_waitcnt lgkmcnt(1)
	v_add_f64 v[2:3], v[14:15], v[30:31]
	v_add_f64 v[36:37], v[16:17], v[24:25]
	v_add_f64 v[59:60], v[18:19], -v[26:27]
	v_add_f64 v[26:27], v[18:19], v[26:27]
	v_add_f64 v[61:62], v[16:17], -v[24:25]
	s_waitcnt lgkmcnt(0)
	v_add_f64 v[24:25], v[28:29], v[47:48]
	v_add_f64 v[63:64], v[30:31], -v[49:50]
	v_fma_f64 v[16:17], v[51:52], -0.5, v[4:5]
	v_add_f64 v[30:31], v[30:31], v[49:50]
	v_fma_f64 v[18:19], v[55:56], -0.5, v[6:7]
	s_mov_b32 s3, 0xbfebb67a
	s_mov_b32 s5, 0x3febb67a
	;; [unrolled: 1-line block ×3, first 2 shown]
	v_add_f64 v[0:1], v[12:13], v[28:29]
	v_add_f64 v[28:29], v[28:29], -v[47:48]
	v_fma_f64 v[4:5], v[53:54], s[2:3], v[16:17]
	v_fma_f64 v[8:9], v[36:37], -0.5, v[8:9]
	v_fma_f64 v[6:7], v[57:58], s[4:5], v[18:19]
	v_fma_f64 v[10:11], v[26:27], -0.5, v[10:11]
	v_fma_f64 v[36:37], v[24:25], -0.5, v[12:13]
	;; [unrolled: 1-line block ×3, first 2 shown]
	v_lshl_add_u32 v39, v38, 5, v46
	v_add_f64 v[0:1], v[0:1], v[47:48]
	v_add_f64 v[2:3], v[2:3], v[49:50]
	v_fma_f64 v[16:17], v[53:54], s[4:5], v[16:17]
	v_fma_f64 v[18:19], v[57:58], s[2:3], v[18:19]
	s_barrier
	ds_write_b128 v39, v[4:7] offset:16
	v_fma_f64 v[12:13], v[59:60], s[2:3], v[8:9]
	v_fma_f64 v[24:25], v[59:60], s[4:5], v[8:9]
	;; [unrolled: 1-line block ×8, first 2 shown]
	s_movk_i32 s2, 0xa2
	v_mad_i32_i24 v36, v42, 48, 0
	v_cmp_gt_u32_e32 vcc, s2, v38
	ds_write_b128 v39, v[32:35]
	ds_write_b128 v39, v[16:19] offset:32
	ds_write_b128 v36, v[20:23]
	ds_write_b128 v36, v[12:15] offset:16
	ds_write_b128 v36, v[24:27] offset:32
	s_and_saveexec_b64 s[2:3], vcc
	s_cbranch_execz .LBB0_15
; %bb.14:
	v_mad_i32_i24 v12, v44, 48, 0
	ds_write_b128 v12, v[0:3]
	ds_write_b128 v12, v[4:7] offset:16
	ds_write_b128 v12, v[8:11] offset:32
.LBB0_15:
	s_or_b64 exec, exec, s[2:3]
	v_lshlrev_b32_e32 v37, 5, v42
	v_sub_u32_e32 v12, v36, v37
	s_waitcnt lgkmcnt(0)
	s_barrier
	ds_read_b128 v[16:19], v46
	ds_read_b128 v[12:15], v12
	ds_read_b128 v[32:35], v46 offset:10368
	ds_read_b128 v[20:23], v46 offset:14256
	;; [unrolled: 1-line block ×4, first 2 shown]
	v_lshl_add_u32 v47, v44, 4, 0
	s_and_saveexec_b64 s[2:3], vcc
	s_cbranch_execz .LBB0_17
; %bb.16:
	ds_read_b128 v[0:3], v47
	ds_read_b128 v[4:7], v46 offset:18144
	ds_read_b128 v[8:11], v46 offset:28512
.LBB0_17:
	s_or_b64 exec, exec, s[2:3]
	s_movk_i32 s2, 0xab
	v_mul_lo_u16_sdwa v39, v38, s2 dst_sel:DWORD dst_unused:UNUSED_PAD src0_sel:BYTE_0 src1_sel:DWORD
	v_lshrrev_b16_e32 v45, 9, v39
	v_mul_lo_u16_e32 v39, 3, v45
	v_sub_u16_e32 v72, v38, v39
	v_mov_b32_e32 v39, 5
	v_lshlrev_b32_sdwa v39, v39, v72 dst_sel:DWORD dst_unused:UNUSED_PAD src0_sel:DWORD src1_sel:BYTE_0
	s_mov_b32 s2, 0xaaab
	global_load_dwordx4 v[48:51], v39, s[8:9]
	global_load_dwordx4 v[52:55], v39, s[8:9] offset:16
	v_mul_u32_u24_sdwa v43, v42, s2 dst_sel:DWORD dst_unused:UNUSED_PAD src0_sel:WORD_0 src1_sel:DWORD
	v_lshrrev_b32_e32 v73, 17, v43
	v_mul_lo_u16_e32 v39, 3, v73
	v_mul_u32_u24_sdwa v60, v44, s2 dst_sel:DWORD dst_unused:UNUSED_PAD src0_sel:WORD_0 src1_sel:DWORD
	v_sub_u16_e32 v74, v42, v39
	v_lshlrev_b32_e32 v43, 5, v74
	v_lshrrev_b32_e32 v39, 17, v60
	global_load_dwordx4 v[56:59], v43, s[8:9]
	global_load_dwordx4 v[60:63], v43, s[8:9] offset:16
	v_mul_lo_u16_e32 v43, 3, v39
	v_sub_u16_e32 v43, v44, v43
	v_lshlrev_b32_e32 v75, 5, v43
	global_load_dwordx4 v[64:67], v75, s[8:9]
	global_load_dwordx4 v[68:71], v75, s[8:9] offset:16
	v_mov_b32_e32 v75, 4
	v_mul_u32_u24_e32 v45, 0x90, v45
	v_lshlrev_b32_sdwa v75, v75, v72 dst_sel:DWORD dst_unused:UNUSED_PAD src0_sel:DWORD src1_sel:BYTE_0
	v_mul_u32_u24_e32 v78, 0x90, v73
	v_lshlrev_b32_e32 v79, 4, v74
	v_add3_u32 v45, 0, v45, v75
	s_mov_b32 s2, 0xe8584caa
	s_mov_b32 s3, 0xbfebb67a
	;; [unrolled: 1-line block ×3, first 2 shown]
	v_sub_u32_e32 v37, 0, v37
	s_waitcnt vmcnt(0) lgkmcnt(0)
	s_barrier
	v_mul_f64 v[72:73], v[34:35], v[50:51]
	v_mul_f64 v[50:51], v[32:33], v[50:51]
	;; [unrolled: 1-line block ×4, first 2 shown]
	v_fma_f64 v[32:33], v[32:33], v[48:49], v[72:73]
	v_fma_f64 v[34:35], v[34:35], v[48:49], -v[50:51]
	v_mul_f64 v[48:49], v[22:23], v[58:59]
	v_mul_f64 v[50:51], v[20:21], v[58:59]
	;; [unrolled: 1-line block ×3, first 2 shown]
	v_fma_f64 v[28:29], v[28:29], v[52:53], v[74:75]
	v_fma_f64 v[30:31], v[30:31], v[52:53], -v[54:55]
	v_mul_f64 v[52:53], v[6:7], v[66:67]
	v_mul_f64 v[54:55], v[4:5], v[66:67]
	;; [unrolled: 1-line block ×5, first 2 shown]
	v_fma_f64 v[20:21], v[20:21], v[56:57], v[48:49]
	v_fma_f64 v[24:25], v[24:25], v[60:61], v[58:59]
	v_fma_f64 v[22:23], v[22:23], v[56:57], -v[50:51]
	v_fma_f64 v[4:5], v[4:5], v[64:65], v[52:53]
	v_fma_f64 v[6:7], v[6:7], v[64:65], -v[54:55]
	;; [unrolled: 2-line block ×3, first 2 shown]
	v_fma_f64 v[26:27], v[26:27], v[60:61], -v[62:63]
	v_add_f64 v[48:49], v[16:17], v[32:33]
	v_add_f64 v[50:51], v[18:19], v[34:35]
	;; [unrolled: 1-line block ×3, first 2 shown]
	v_add_f64 v[54:55], v[34:35], -v[30:31]
	v_add_f64 v[34:35], v[34:35], v[30:31]
	v_add_f64 v[56:57], v[12:13], v[20:21]
	;; [unrolled: 1-line block ×6, first 2 shown]
	v_add_f64 v[32:33], v[32:33], -v[28:29]
	v_add_f64 v[60:61], v[22:23], -v[26:27]
	v_add_f64 v[62:63], v[14:15], v[22:23]
	v_add_f64 v[66:67], v[20:21], -v[24:25]
	v_add_f64 v[68:69], v[0:1], v[4:5]
	v_add_f64 v[72:73], v[2:3], v[6:7]
	v_add_f64 v[76:77], v[6:7], -v[10:11]
	v_add_f64 v[4:5], v[4:5], -v[8:9]
	v_add_f64 v[20:21], v[48:49], v[28:29]
	v_add_f64 v[22:23], v[50:51], v[30:31]
	v_fma_f64 v[28:29], v[52:53], -0.5, v[16:17]
	v_fma_f64 v[30:31], v[34:35], -0.5, v[18:19]
	v_add_f64 v[16:17], v[56:57], v[24:25]
	v_fma_f64 v[12:13], v[58:59], -0.5, v[12:13]
	v_fma_f64 v[52:53], v[70:71], -0.5, v[0:1]
	v_fma_f64 v[56:57], v[74:75], -0.5, v[2:3]
	v_fma_f64 v[14:15], v[64:65], -0.5, v[14:15]
	v_add_f64 v[18:19], v[62:63], v[26:27]
	v_add_f64 v[6:7], v[68:69], v[8:9]
	;; [unrolled: 1-line block ×3, first 2 shown]
	v_fma_f64 v[26:27], v[32:33], s[4:5], v[30:31]
	v_fma_f64 v[30:31], v[32:33], s[2:3], v[30:31]
	;; [unrolled: 1-line block ×12, first 2 shown]
	v_add3_u32 v4, 0, v78, v79
	ds_write_b128 v45, v[20:23]
	ds_write_b128 v45, v[24:27] offset:48
	ds_write_b128 v45, v[28:31] offset:96
	ds_write_b128 v4, v[16:19]
	ds_write_b128 v4, v[32:35] offset:48
	ds_write_b128 v4, v[48:51] offset:96
	s_and_saveexec_b64 s[2:3], vcc
	s_cbranch_execz .LBB0_19
; %bb.18:
	v_mul_lo_u16_e32 v4, 9, v39
	v_lshlrev_b32_e32 v5, 4, v43
	v_lshlrev_b32_e32 v4, 4, v4
	v_add3_u32 v4, 0, v5, v4
	ds_write_b128 v4, v[6:9]
	ds_write_b128 v4, v[0:3] offset:48
	ds_write_b128 v4, v[10:13] offset:96
.LBB0_19:
	s_or_b64 exec, exec, s[2:3]
	s_waitcnt lgkmcnt(0)
	s_barrier
	v_add_u32_e32 v48, v36, v37
	ds_read_b128 v[18:21], v46
	ds_read_b128 v[14:17], v48
	ds_read_b128 v[34:37], v46 offset:10368
	ds_read_b128 v[22:25], v46 offset:14256
	;; [unrolled: 1-line block ×4, first 2 shown]
	s_and_saveexec_b64 s[2:3], vcc
	s_cbranch_execz .LBB0_21
; %bb.20:
	ds_read_b128 v[6:9], v47
	ds_read_b128 v[0:3], v46 offset:18144
	ds_read_b128 v[10:13], v46 offset:28512
.LBB0_21:
	s_or_b64 exec, exec, s[2:3]
	v_mov_b32_e32 v4, 57
	v_mul_lo_u16_sdwa v4, v38, v4 dst_sel:DWORD dst_unused:UNUSED_PAD src0_sel:BYTE_0 src1_sel:DWORD
	v_lshrrev_b16_e32 v4, 9, v4
	v_mul_lo_u16_e32 v5, 9, v4
	v_sub_u16_e32 v5, v38, v5
	v_mov_b32_e32 v39, 5
	v_lshlrev_b32_sdwa v39, v39, v5 dst_sel:DWORD dst_unused:UNUSED_PAD src0_sel:DWORD src1_sel:BYTE_0
	s_mov_b32 s2, 0xe38f
	global_load_dwordx4 v[49:52], v39, s[8:9] offset:96
	global_load_dwordx4 v[53:56], v39, s[8:9] offset:112
	v_mul_u32_u24_sdwa v43, v42, s2 dst_sel:DWORD dst_unused:UNUSED_PAD src0_sel:WORD_0 src1_sel:DWORD
	v_lshrrev_b32_e32 v73, 19, v43
	v_mul_lo_u16_e32 v39, 9, v73
	v_mul_u32_u24_sdwa v45, v44, s2 dst_sel:DWORD dst_unused:UNUSED_PAD src0_sel:WORD_0 src1_sel:DWORD
	v_sub_u16_e32 v74, v42, v39
	v_lshlrev_b32_e32 v43, 5, v74
	v_lshrrev_b32_e32 v39, 19, v45
	global_load_dwordx4 v[57:60], v43, s[8:9] offset:96
	global_load_dwordx4 v[61:64], v43, s[8:9] offset:112
	v_mul_lo_u16_e32 v43, 9, v39
	v_sub_u16_e32 v43, v44, v43
	v_lshlrev_b32_e32 v45, 5, v43
	global_load_dwordx4 v[65:68], v45, s[8:9] offset:96
	global_load_dwordx4 v[69:72], v45, s[8:9] offset:112
	v_mov_b32_e32 v45, 4
	v_mul_u32_u24_e32 v75, 0x1b0, v4
	v_mul_u32_u24_e32 v77, 0x1b0, v73
	v_lshlrev_b32_sdwa v45, v45, v5 dst_sel:DWORD dst_unused:UNUSED_PAD src0_sel:DWORD src1_sel:BYTE_0
	v_lshlrev_b32_e32 v78, 4, v74
	v_add3_u32 v45, 0, v75, v45
	s_mov_b32 s2, 0xe8584caa
	s_mov_b32 s3, 0xbfebb67a
	s_mov_b32 s4, s2
	s_waitcnt vmcnt(0) lgkmcnt(0)
	s_barrier
	v_mul_f64 v[4:5], v[36:37], v[51:52]
	v_mul_f64 v[51:52], v[34:35], v[51:52]
	v_mul_f64 v[73:74], v[32:33], v[55:56]
	v_mul_f64 v[55:56], v[30:31], v[55:56]
	v_fma_f64 v[4:5], v[34:35], v[49:50], v[4:5]
	v_fma_f64 v[34:35], v[36:37], v[49:50], -v[51:52]
	v_mul_f64 v[36:37], v[24:25], v[59:60]
	v_mul_f64 v[49:50], v[22:23], v[59:60]
	v_mul_f64 v[51:52], v[28:29], v[63:64]
	v_mul_f64 v[59:60], v[26:27], v[63:64]
	v_fma_f64 v[30:31], v[30:31], v[53:54], v[73:74]
	v_fma_f64 v[32:33], v[32:33], v[53:54], -v[55:56]
	;; [unrolled: 6-line block ×3, first 2 shown]
	v_fma_f64 v[26:27], v[26:27], v[61:62], v[51:52]
	v_fma_f64 v[28:29], v[28:29], v[61:62], -v[59:60]
	v_fma_f64 v[0:1], v[0:1], v[65:66], v[53:54]
	v_fma_f64 v[2:3], v[2:3], v[65:66], -v[55:56]
	;; [unrolled: 2-line block ×3, first 2 shown]
	v_add_f64 v[36:37], v[18:19], v[4:5]
	v_add_f64 v[49:50], v[20:21], v[34:35]
	;; [unrolled: 1-line block ×3, first 2 shown]
	v_add_f64 v[55:56], v[4:5], -v[30:31]
	v_add_f64 v[4:5], v[14:15], v[22:23]
	v_add_f64 v[67:68], v[6:7], v[0:1]
	;; [unrolled: 1-line block ×4, first 2 shown]
	v_add_f64 v[53:54], v[34:35], -v[32:33]
	v_add_f64 v[34:35], v[34:35], v[32:33]
	v_add_f64 v[57:58], v[22:23], v[26:27]
	;; [unrolled: 1-line block ×3, first 2 shown]
	v_add_f64 v[59:60], v[24:25], -v[28:29]
	v_add_f64 v[61:62], v[16:17], v[24:25]
	v_add_f64 v[71:72], v[8:9], v[2:3]
	v_add_f64 v[2:3], v[2:3], -v[12:13]
	v_add_f64 v[75:76], v[0:1], -v[10:11]
	v_add_f64 v[24:25], v[49:50], v[32:33]
	v_fma_f64 v[0:1], v[51:52], -0.5, v[18:19]
	v_add_f64 v[18:19], v[4:5], v[26:27]
	v_add_f64 v[4:5], v[67:68], v[10:11]
	v_fma_f64 v[10:11], v[69:70], -0.5, v[6:7]
	v_fma_f64 v[49:50], v[73:74], -0.5, v[8:9]
	v_add_f64 v[65:66], v[22:23], -v[26:27]
	v_add_f64 v[22:23], v[36:37], v[30:31]
	v_fma_f64 v[30:31], v[34:35], -0.5, v[20:21]
	v_fma_f64 v[32:33], v[57:58], -0.5, v[14:15]
	;; [unrolled: 1-line block ×3, first 2 shown]
	v_add_f64 v[6:7], v[71:72], v[12:13]
	v_fma_f64 v[12:13], v[53:54], s[2:3], v[0:1]
	v_fma_f64 v[26:27], v[53:54], s[4:5], v[0:1]
	;; [unrolled: 1-line block ×7, first 2 shown]
	v_add_f64 v[20:21], v[61:62], v[28:29]
	v_fma_f64 v[28:29], v[55:56], s[2:3], v[30:31]
	v_fma_f64 v[30:31], v[59:60], s[2:3], v[32:33]
	;; [unrolled: 1-line block ×5, first 2 shown]
	v_add3_u32 v16, 0, v77, v78
	ds_write_b128 v45, v[22:25]
	ds_write_b128 v45, v[12:15] offset:144
	ds_write_b128 v45, v[26:29] offset:288
	ds_write_b128 v16, v[18:21]
	ds_write_b128 v16, v[30:33] offset:144
	ds_write_b128 v16, v[34:37] offset:288
	s_and_saveexec_b64 s[2:3], vcc
	s_cbranch_execz .LBB0_23
; %bb.22:
	v_mul_lo_u16_e32 v12, 27, v39
	v_lshlrev_b32_e32 v13, 4, v43
	v_lshlrev_b32_e32 v12, 4, v12
	v_add3_u32 v12, 0, v13, v12
	ds_write_b128 v12, v[4:7]
	ds_write_b128 v12, v[0:3] offset:144
	ds_write_b128 v12, v[8:11] offset:288
.LBB0_23:
	s_or_b64 exec, exec, s[2:3]
	s_waitcnt lgkmcnt(0)
	s_barrier
	ds_read_b128 v[16:19], v46
	ds_read_b128 v[12:15], v48
	ds_read_b128 v[32:35], v46 offset:10368
	ds_read_b128 v[20:23], v46 offset:14256
	;; [unrolled: 1-line block ×4, first 2 shown]
	s_and_saveexec_b64 s[2:3], vcc
	s_cbranch_execz .LBB0_25
; %bb.24:
	ds_read_b128 v[4:7], v47
	ds_read_b128 v[0:3], v46 offset:18144
	ds_read_b128 v[8:11], v46 offset:28512
.LBB0_25:
	s_or_b64 exec, exec, s[2:3]
	v_mov_b32_e32 v36, 19
	v_mul_lo_u16_sdwa v36, v38, v36 dst_sel:DWORD dst_unused:UNUSED_PAD src0_sel:BYTE_0 src1_sel:DWORD
	v_lshrrev_b16_e32 v43, 9, v36
	v_mul_lo_u16_e32 v36, 27, v43
	v_sub_u16_e32 v45, v38, v36
	v_mov_b32_e32 v36, 5
	v_lshlrev_b32_sdwa v36, v36, v45 dst_sel:DWORD dst_unused:UNUSED_PAD src0_sel:DWORD src1_sel:BYTE_0
	s_movk_i32 s2, 0x2f69
	global_load_dwordx4 v[49:52], v36, s[8:9] offset:384
	global_load_dwordx4 v[53:56], v36, s[8:9] offset:400
	v_mul_u32_u24_sdwa v36, v42, s2 dst_sel:DWORD dst_unused:UNUSED_PAD src0_sel:WORD_0 src1_sel:DWORD
	v_sub_u16_sdwa v37, v42, v36 dst_sel:DWORD dst_unused:UNUSED_PAD src0_sel:DWORD src1_sel:WORD_1
	v_lshrrev_b16_e32 v37, 1, v37
	v_add_u16_sdwa v36, v37, v36 dst_sel:DWORD dst_unused:UNUSED_PAD src0_sel:DWORD src1_sel:WORD_1
	v_lshrrev_b16_e32 v73, 4, v36
	v_mul_lo_u16_e32 v36, 27, v73
	v_sub_u16_e32 v75, v42, v36
	v_lshlrev_b32_e32 v36, 5, v75
	global_load_dwordx4 v[57:60], v36, s[8:9] offset:384
	global_load_dwordx4 v[61:64], v36, s[8:9] offset:400
	v_mul_u32_u24_sdwa v36, v44, s2 dst_sel:DWORD dst_unused:UNUSED_PAD src0_sel:WORD_0 src1_sel:DWORD
	v_sub_u16_sdwa v37, v44, v36 dst_sel:DWORD dst_unused:UNUSED_PAD src0_sel:DWORD src1_sel:WORD_1
	v_lshrrev_b16_e32 v37, 1, v37
	v_add_u16_sdwa v36, v37, v36 dst_sel:DWORD dst_unused:UNUSED_PAD src0_sel:DWORD src1_sel:WORD_1
	v_lshrrev_b16_e32 v37, 4, v36
	v_mul_lo_u16_e32 v36, 27, v37
	v_sub_u16_e32 v39, v44, v36
	v_lshlrev_b32_e32 v36, 5, v39
	global_load_dwordx4 v[65:68], v36, s[8:9] offset:384
	global_load_dwordx4 v[69:72], v36, s[8:9] offset:400
	v_mov_b32_e32 v36, 4
	v_mul_u32_u24_e32 v43, 0x510, v43
	v_lshlrev_b32_sdwa v45, v36, v45 dst_sel:DWORD dst_unused:UNUSED_PAD src0_sel:DWORD src1_sel:BYTE_0
	v_add3_u32 v43, 0, v43, v45
	v_mul_u32_u24_e32 v45, 0x510, v73
	v_lshlrev_b32_e32 v77, 4, v75
	s_mov_b32 s4, 0xe8584caa
	s_mov_b32 s5, 0xbfebb67a
	;; [unrolled: 1-line block ×4, first 2 shown]
	s_waitcnt vmcnt(0) lgkmcnt(0)
	s_barrier
	v_add3_u32 v45, 0, v45, v77
	v_mul_f64 v[73:74], v[34:35], v[51:52]
	v_mul_f64 v[51:52], v[32:33], v[51:52]
	v_mul_f64 v[75:76], v[30:31], v[55:56]
	v_mul_f64 v[55:56], v[28:29], v[55:56]
	v_fma_f64 v[32:33], v[32:33], v[49:50], v[73:74]
	v_fma_f64 v[34:35], v[34:35], v[49:50], -v[51:52]
	v_mul_f64 v[49:50], v[22:23], v[59:60]
	v_mul_f64 v[51:52], v[20:21], v[59:60]
	v_mul_f64 v[59:60], v[26:27], v[63:64]
	v_mul_f64 v[63:64], v[24:25], v[63:64]
	v_fma_f64 v[28:29], v[28:29], v[53:54], v[75:76]
	v_fma_f64 v[30:31], v[30:31], v[53:54], -v[55:56]
	;; [unrolled: 6-line block ×3, first 2 shown]
	v_fma_f64 v[57:58], v[24:25], v[61:62], v[59:60]
	v_fma_f64 v[59:60], v[26:27], v[61:62], -v[63:64]
	v_fma_f64 v[20:21], v[0:1], v[65:66], v[53:54]
	v_fma_f64 v[22:23], v[2:3], v[65:66], -v[55:56]
	;; [unrolled: 2-line block ×3, first 2 shown]
	v_add_f64 v[0:1], v[16:17], v[32:33]
	v_add_f64 v[2:3], v[18:19], v[34:35]
	;; [unrolled: 1-line block ×3, first 2 shown]
	v_add_f64 v[55:56], v[34:35], -v[30:31]
	v_add_f64 v[34:35], v[34:35], v[30:31]
	v_add_f64 v[61:62], v[32:33], -v[28:29]
	v_add_f64 v[32:33], v[12:13], v[49:50]
	v_add_f64 v[63:64], v[49:50], v[57:58]
	v_add_f64 v[65:66], v[51:52], -v[59:60]
	v_add_f64 v[67:68], v[14:15], v[51:52]
	;; [unrolled: 3-line block ×3, first 2 shown]
	v_add_f64 v[71:72], v[22:23], v[10:11]
	v_add_f64 v[24:25], v[22:23], -v[10:11]
	v_add_f64 v[26:27], v[20:21], -v[8:9]
	v_add_f64 v[28:29], v[0:1], v[28:29]
	v_add_f64 v[30:31], v[2:3], v[30:31]
	v_fma_f64 v[0:1], v[53:54], -0.5, v[16:17]
	v_fma_f64 v[2:3], v[34:35], -0.5, v[18:19]
	v_add_f64 v[16:17], v[32:33], v[57:58]
	v_add_f64 v[18:19], v[67:68], v[59:60]
	v_fma_f64 v[57:58], v[63:64], -0.5, v[12:13]
	v_fma_f64 v[59:60], v[51:52], -0.5, v[14:15]
	;; [unrolled: 1-line block ×4, first 2 shown]
	v_fma_f64 v[32:33], v[55:56], s[4:5], v[0:1]
	v_fma_f64 v[49:50], v[55:56], s[2:3], v[0:1]
	;; [unrolled: 1-line block ×10, first 2 shown]
	ds_write_b128 v43, v[28:31]
	ds_write_b128 v43, v[32:35] offset:432
	ds_write_b128 v43, v[49:52] offset:864
	ds_write_b128 v45, v[16:19]
	ds_write_b128 v45, v[53:56] offset:432
	ds_write_b128 v45, v[57:60] offset:864
	s_and_saveexec_b64 s[4:5], vcc
	s_cbranch_execz .LBB0_27
; %bb.26:
	v_add_f64 v[18:19], v[6:7], v[22:23]
	v_add_f64 v[4:5], v[4:5], v[20:21]
	v_mul_f64 v[16:17], v[26:27], s[2:3]
	v_mul_f64 v[20:21], v[24:25], s[2:3]
	v_add_f64 v[10:11], v[18:19], v[10:11]
	v_add_f64 v[8:9], v[4:5], v[8:9]
	;; [unrolled: 1-line block ×3, first 2 shown]
	v_add_f64 v[4:5], v[12:13], -v[20:21]
	v_mul_lo_u16_e32 v12, 0x51, v37
	v_lshlrev_b32_e32 v13, 4, v39
	v_lshlrev_b32_e32 v12, 4, v12
	v_add3_u32 v12, 0, v13, v12
	ds_write_b128 v12, v[8:11]
	ds_write_b128 v12, v[4:7] offset:432
	ds_write_b128 v12, v[0:3] offset:864
.LBB0_27:
	s_or_b64 exec, exec, s[4:5]
	s_movk_i32 s2, 0xcb
	v_mul_lo_u16_sdwa v4, v38, s2 dst_sel:DWORD dst_unused:UNUSED_PAD src0_sel:BYTE_0 src1_sel:DWORD
	v_lshrrev_b16_e32 v37, 14, v4
	v_mul_lo_u16_e32 v4, 0x51, v37
	v_sub_u16_e32 v39, v38, v4
	v_mov_b32_e32 v4, 7
	v_mul_u32_u24_sdwa v4, v39, v4 dst_sel:DWORD dst_unused:UNUSED_PAD src0_sel:BYTE_0 src1_sel:DWORD
	v_lshlrev_b32_e32 v32, 4, v4
	s_waitcnt lgkmcnt(0)
	s_barrier
	global_load_dwordx4 v[4:7], v32, s[8:9] offset:1248
	global_load_dwordx4 v[8:11], v32, s[8:9] offset:1264
	;; [unrolled: 1-line block ×7, first 2 shown]
	ds_read_b128 v[32:35], v48
	ds_read_b128 v[49:52], v46 offset:11664
	ds_read_b128 v[53:56], v46 offset:15552
	;; [unrolled: 1-line block ×4, first 2 shown]
	ds_read_b128 v[65:68], v47
	ds_read_b128 v[69:72], v46
	ds_read_b128 v[73:76], v46 offset:27216
	v_mul_u32_u24_e32 v37, 0x2880, v37
	v_lshlrev_b32_sdwa v36, v36, v39 dst_sel:DWORD dst_unused:UNUSED_PAD src0_sel:DWORD src1_sel:BYTE_0
	v_add3_u32 v39, 0, v37, v36
	s_mov_b32 s2, 0x667f3bcd
	s_mov_b32 s3, 0xbfe6a09e
	s_mov_b32 s5, 0x3fe6a09e
	s_mov_b32 s4, s2
	s_waitcnt vmcnt(0) lgkmcnt(0)
	s_barrier
	v_mul_f64 v[36:37], v[34:35], v[6:7]
	v_mul_f64 v[6:7], v[32:33], v[6:7]
	;; [unrolled: 1-line block ×7, first 2 shown]
	v_fma_f64 v[32:33], v[32:33], v[4:5], v[36:37]
	v_fma_f64 v[4:5], v[34:35], v[4:5], -v[6:7]
	v_mul_f64 v[6:7], v[53:54], v[18:19]
	v_mul_f64 v[18:19], v[59:60], v[22:23]
	;; [unrolled: 1-line block ×4, first 2 shown]
	v_fma_f64 v[36:37], v[65:66], v[8:9], v[77:78]
	v_fma_f64 v[8:9], v[67:68], v[8:9], -v[10:11]
	v_mul_f64 v[10:11], v[61:62], v[26:27]
	v_mul_f64 v[26:27], v[75:76], v[30:31]
	;; [unrolled: 1-line block ×3, first 2 shown]
	v_fma_f64 v[49:50], v[49:50], v[12:13], v[79:80]
	v_fma_f64 v[12:13], v[51:52], v[12:13], -v[14:15]
	v_fma_f64 v[14:15], v[53:54], v[16:17], v[81:82]
	v_fma_f64 v[6:7], v[55:56], v[16:17], -v[6:7]
	;; [unrolled: 2-line block ×5, first 2 shown]
	v_add_f64 v[14:15], v[69:70], -v[14:15]
	v_add_f64 v[6:7], v[71:72], -v[6:7]
	;; [unrolled: 1-line block ×8, first 2 shown]
	v_fma_f64 v[26:27], v[69:70], 2.0, -v[14:15]
	v_fma_f64 v[28:29], v[71:72], 2.0, -v[6:7]
	;; [unrolled: 1-line block ×6, first 2 shown]
	v_add_f64 v[36:37], v[6:7], -v[16:17]
	v_fma_f64 v[16:17], v[49:50], 2.0, -v[22:23]
	v_fma_f64 v[12:13], v[12:13], 2.0, -v[24:25]
	v_add_f64 v[34:35], v[14:15], v[18:19]
	v_add_f64 v[18:19], v[20:21], v[24:25]
	v_add_f64 v[22:23], v[10:11], -v[22:23]
	v_add_f64 v[24:25], v[26:27], -v[30:31]
	;; [unrolled: 1-line block ×3, first 2 shown]
	v_fma_f64 v[51:52], v[6:7], 2.0, -v[36:37]
	v_add_f64 v[6:7], v[32:33], -v[16:17]
	v_add_f64 v[8:9], v[4:5], -v[12:13]
	v_fma_f64 v[49:50], v[14:15], 2.0, -v[34:35]
	v_fma_f64 v[20:21], v[20:21], 2.0, -v[18:19]
	;; [unrolled: 1-line block ×3, first 2 shown]
	v_fma_f64 v[10:11], v[18:19], s[4:5], v[34:35]
	v_fma_f64 v[12:13], v[22:23], s[4:5], v[36:37]
	v_fma_f64 v[53:54], v[26:27], 2.0, -v[24:25]
	v_fma_f64 v[55:56], v[28:29], 2.0, -v[30:31]
	v_fma_f64 v[14:15], v[32:33], 2.0, -v[6:7]
	v_fma_f64 v[26:27], v[4:5], 2.0, -v[8:9]
	v_fma_f64 v[28:29], v[20:21], s[2:3], v[49:50]
	v_fma_f64 v[32:33], v[16:17], s[2:3], v[51:52]
	v_add_f64 v[4:5], v[24:25], v[8:9]
	v_add_f64 v[6:7], v[30:31], -v[6:7]
	v_fma_f64 v[8:9], v[22:23], s[4:5], v[10:11]
	v_fma_f64 v[10:11], v[18:19], s[2:3], v[12:13]
	v_add_f64 v[12:13], v[53:54], -v[14:15]
	v_add_f64 v[14:15], v[55:56], -v[26:27]
	v_fma_f64 v[16:17], v[16:17], s[4:5], v[28:29]
	v_fma_f64 v[18:19], v[20:21], s[2:3], v[32:33]
	v_fma_f64 v[20:21], v[24:25], 2.0, -v[4:5]
	v_fma_f64 v[22:23], v[30:31], 2.0, -v[6:7]
	;; [unrolled: 1-line block ×8, first 2 shown]
	ds_write_b128 v39, v[4:7] offset:7776
	ds_write_b128 v39, v[8:11] offset:9072
	;; [unrolled: 1-line block ×6, first 2 shown]
	ds_write_b128 v39, v[28:31]
	ds_write_b128 v39, v[32:35] offset:1296
	s_waitcnt lgkmcnt(0)
	s_barrier
	ds_read_b128 v[16:19], v46
	ds_read_b128 v[12:15], v48
	ds_read_b128 v[28:31], v46 offset:10368
	ds_read_b128 v[20:23], v46 offset:14256
	;; [unrolled: 1-line block ×4, first 2 shown]
	s_and_saveexec_b64 s[2:3], vcc
	s_cbranch_execz .LBB0_29
; %bb.28:
	ds_read_b128 v[4:7], v47
	ds_read_b128 v[8:11], v46 offset:18144
	ds_read_b128 v[0:3], v46 offset:28512
.LBB0_29:
	s_or_b64 exec, exec, s[2:3]
	v_lshlrev_b32_e32 v36, 1, v38
	v_mov_b32_e32 v37, 0
	v_lshlrev_b64 v[49:50], 4, v[36:37]
	v_mov_b32_e32 v39, s9
	v_add_co_u32_e64 v36, s[2:3], s8, v49
	v_addc_co_u32_e64 v43, s[2:3], v39, v50, s[2:3]
	s_movk_i32 s10, 0x2000
	v_add_co_u32_e64 v57, s[2:3], s10, v36
	s_movk_i32 s4, 0x2850
	v_addc_co_u32_e64 v58, s[2:3], 0, v43, s[2:3]
	v_add_co_u32_e64 v59, s[2:3], s4, v36
	v_lshlrev_b32_e32 v36, 1, v42
	v_addc_co_u32_e64 v60, s[2:3], 0, v43, s[2:3]
	global_load_dwordx4 v[49:52], v[57:58], off offset:2128
	global_load_dwordx4 v[53:56], v[59:60], off offset:16
	v_lshlrev_b64 v[57:58], 4, v[36:37]
	s_mov_b32 s5, 0x3febb67a
	v_add_co_u32_e64 v36, s[2:3], s8, v57
	v_addc_co_u32_e64 v39, s[2:3], v39, v58, s[2:3]
	v_add_co_u32_e64 v57, s[2:3], s10, v36
	v_addc_co_u32_e64 v58, s[2:3], 0, v39, s[2:3]
	;; [unrolled: 2-line block ×3, first 2 shown]
	global_load_dwordx4 v[57:60], v[57:58], off offset:2128
	s_mov_b32 s2, 0xe8584caa
	global_load_dwordx4 v[61:64], v[61:62], off offset:16
	s_mov_b32 s3, 0xbfebb67a
	s_mov_b32 s4, s2
	s_waitcnt vmcnt(0) lgkmcnt(0)
	s_barrier
	v_mul_f64 v[65:66], v[30:31], v[51:52]
	v_mul_f64 v[51:52], v[28:29], v[51:52]
	v_mul_f64 v[67:68], v[34:35], v[55:56]
	v_mul_f64 v[55:56], v[32:33], v[55:56]
	v_fma_f64 v[28:29], v[28:29], v[49:50], v[65:66]
	v_fma_f64 v[30:31], v[30:31], v[49:50], -v[51:52]
	v_fma_f64 v[32:33], v[32:33], v[53:54], v[67:68]
	v_fma_f64 v[34:35], v[34:35], v[53:54], -v[55:56]
	v_mul_f64 v[69:70], v[22:23], v[59:60]
	v_mul_f64 v[59:60], v[20:21], v[59:60]
	;; [unrolled: 1-line block ×4, first 2 shown]
	v_add_f64 v[51:52], v[28:29], v[32:33]
	v_add_f64 v[53:54], v[30:31], -v[34:35]
	v_add_f64 v[55:56], v[18:19], v[30:31]
	v_add_f64 v[30:31], v[30:31], v[34:35]
	v_fma_f64 v[20:21], v[20:21], v[57:58], v[69:70]
	v_fma_f64 v[22:23], v[22:23], v[57:58], -v[59:60]
	v_fma_f64 v[24:25], v[24:25], v[61:62], v[71:72]
	v_fma_f64 v[26:27], v[26:27], v[61:62], -v[63:64]
	v_add_f64 v[49:50], v[16:17], v[28:29]
	v_add_f64 v[28:29], v[28:29], -v[32:33]
	v_fma_f64 v[51:52], v[51:52], -0.5, v[16:17]
	v_fma_f64 v[30:31], v[30:31], -0.5, v[18:19]
	v_add_f64 v[57:58], v[12:13], v[20:21]
	v_add_f64 v[63:64], v[14:15], v[22:23]
	;; [unrolled: 1-line block ×3, first 2 shown]
	v_add_f64 v[61:62], v[22:23], -v[26:27]
	v_add_f64 v[22:23], v[22:23], v[26:27]
	v_add_f64 v[65:66], v[20:21], -v[24:25]
	v_add_f64 v[16:17], v[49:50], v[32:33]
	v_add_f64 v[18:19], v[55:56], v[34:35]
	v_fma_f64 v[20:21], v[53:54], s[2:3], v[51:52]
	v_fma_f64 v[32:33], v[59:60], -0.5, v[12:13]
	v_add_f64 v[12:13], v[57:58], v[24:25]
	v_fma_f64 v[34:35], v[22:23], -0.5, v[14:15]
	v_fma_f64 v[22:23], v[28:29], s[4:5], v[30:31]
	v_add_f64 v[14:15], v[63:64], v[26:27]
	v_fma_f64 v[24:25], v[53:54], s[4:5], v[51:52]
	v_fma_f64 v[26:27], v[28:29], s[2:3], v[30:31]
	;; [unrolled: 1-line block ×6, first 2 shown]
	ds_write_b128 v46, v[16:19]
	ds_write_b128 v46, v[20:23] offset:10368
	ds_write_b128 v46, v[24:27] offset:20736
	ds_write_b128 v48, v[12:15]
	ds_write_b128 v48, v[28:31] offset:10368
	ds_write_b128 v48, v[32:35] offset:20736
	s_and_saveexec_b64 s[6:7], vcc
	s_cbranch_execz .LBB0_31
; %bb.30:
	v_add_u32_e32 v12, 0xffffff5e, v38
	v_cndmask_b32_e32 v12, v12, v44, vcc
	v_lshlrev_b32_e32 v36, 1, v12
	v_lshlrev_b64 v[12:13], 4, v[36:37]
	v_mov_b32_e32 v14, s9
	v_add_co_u32_e32 v12, vcc, s8, v12
	v_addc_co_u32_e32 v13, vcc, v14, v13, vcc
	v_add_co_u32_e32 v20, vcc, 0x2850, v12
	v_addc_co_u32_e32 v21, vcc, 0, v13, vcc
	;; [unrolled: 2-line block ×3, first 2 shown]
	global_load_dwordx4 v[12:15], v[22:23], off offset:2128
	global_load_dwordx4 v[16:19], v[20:21], off offset:16
	s_waitcnt vmcnt(1)
	v_mul_f64 v[20:21], v[8:9], v[14:15]
	s_waitcnt vmcnt(0)
	v_mul_f64 v[22:23], v[0:1], v[18:19]
	v_mul_f64 v[14:15], v[10:11], v[14:15]
	;; [unrolled: 1-line block ×3, first 2 shown]
	v_fma_f64 v[10:11], v[10:11], v[12:13], -v[20:21]
	v_fma_f64 v[2:3], v[2:3], v[16:17], -v[22:23]
	v_fma_f64 v[8:9], v[8:9], v[12:13], v[14:15]
	v_fma_f64 v[0:1], v[0:1], v[16:17], v[18:19]
	v_add_f64 v[18:19], v[6:7], v[10:11]
	v_add_f64 v[12:13], v[10:11], v[2:3]
	v_add_f64 v[20:21], v[10:11], -v[2:3]
	v_add_f64 v[14:15], v[8:9], v[0:1]
	v_add_f64 v[16:17], v[8:9], -v[0:1]
	v_add_f64 v[8:9], v[4:5], v[8:9]
	v_add_f64 v[2:3], v[18:19], v[2:3]
	v_fma_f64 v[12:13], v[12:13], -0.5, v[6:7]
	v_fma_f64 v[4:5], v[14:15], -0.5, v[4:5]
	v_add_f64 v[0:1], v[8:9], v[0:1]
	v_fma_f64 v[10:11], v[16:17], s[4:5], v[12:13]
	v_fma_f64 v[6:7], v[16:17], s[2:3], v[12:13]
	;; [unrolled: 1-line block ×4, first 2 shown]
	ds_write_b128 v46, v[0:3] offset:7776
	ds_write_b128 v46, v[8:11] offset:18144
	;; [unrolled: 1-line block ×3, first 2 shown]
.LBB0_31:
	s_or_b64 exec, exec, s[6:7]
	s_waitcnt lgkmcnt(0)
	s_barrier
	ds_read_b128 v[4:7], v46
	s_add_u32 s4, s8, 0x7950
	v_lshlrev_b32_e32 v0, 4, v38
	s_addc_u32 s5, s9, 0
	v_sub_u32_e32 v12, 0, v0
	v_cmp_ne_u32_e32 vcc, 0, v38
                                        ; implicit-def: $vgpr0_vgpr1
                                        ; implicit-def: $vgpr8_vgpr9
                                        ; implicit-def: $vgpr10_vgpr11
	s_and_saveexec_b64 s[2:3], vcc
	s_xor_b64 s[2:3], exec, s[2:3]
	s_cbranch_execz .LBB0_33
; %bb.32:
	v_mov_b32_e32 v39, 0
	v_lshlrev_b64 v[0:1], 4, v[38:39]
	v_mov_b32_e32 v2, s5
	v_add_co_u32_e32 v0, vcc, s4, v0
	v_addc_co_u32_e32 v1, vcc, v2, v1, vcc
	global_load_dwordx4 v[13:16], v[0:1], off
	ds_read_b128 v[0:3], v12 offset:31104
	s_waitcnt lgkmcnt(0)
	v_add_f64 v[8:9], v[4:5], -v[0:1]
	v_add_f64 v[10:11], v[6:7], v[2:3]
	v_add_f64 v[2:3], v[6:7], -v[2:3]
	v_add_f64 v[0:1], v[4:5], v[0:1]
	v_mul_f64 v[6:7], v[8:9], 0.5
	v_mul_f64 v[4:5], v[10:11], 0.5
	v_mul_f64 v[2:3], v[2:3], 0.5
	s_waitcnt vmcnt(0)
	v_mul_f64 v[8:9], v[6:7], v[15:16]
	v_fma_f64 v[10:11], v[4:5], v[15:16], v[2:3]
	v_fma_f64 v[2:3], v[4:5], v[15:16], -v[2:3]
	v_fma_f64 v[17:18], v[0:1], 0.5, v[8:9]
	v_fma_f64 v[0:1], v[0:1], 0.5, -v[8:9]
	v_fma_f64 v[10:11], -v[13:14], v[6:7], v[10:11]
	v_fma_f64 v[2:3], -v[13:14], v[6:7], v[2:3]
	v_fma_f64 v[8:9], v[4:5], v[13:14], v[17:18]
	v_fma_f64 v[0:1], -v[4:5], v[13:14], v[0:1]
                                        ; implicit-def: $vgpr4_vgpr5
.LBB0_33:
	s_andn2_saveexec_b64 s[2:3], s[2:3]
	s_cbranch_execz .LBB0_35
; %bb.34:
	s_waitcnt lgkmcnt(0)
	v_add_f64 v[8:9], v[4:5], v[6:7]
	v_add_f64 v[0:1], v[4:5], -v[6:7]
	v_mov_b32_e32 v4, 0
	ds_read_b64 v[2:3], v4 offset:15560
	v_mov_b32_e32 v10, 0
	v_mov_b32_e32 v11, 0
	s_waitcnt lgkmcnt(0)
	v_xor_b32_e32 v3, 0x80000000, v3
	ds_write_b64 v4, v[2:3] offset:15560
	v_mov_b32_e32 v2, v10
	v_mov_b32_e32 v3, v11
.LBB0_35:
	s_or_b64 exec, exec, s[2:3]
	v_mov_b32_e32 v43, 0
	s_waitcnt lgkmcnt(0)
	v_lshlrev_b64 v[4:5], 4, v[42:43]
	v_mov_b32_e32 v6, s5
	v_add_co_u32_e32 v4, vcc, s4, v4
	v_addc_co_u32_e32 v5, vcc, v6, v5, vcc
	global_load_dwordx4 v[4:7], v[4:5], off
	v_mov_b32_e32 v45, v43
	v_lshlrev_b64 v[13:14], 4, v[44:45]
	v_mov_b32_e32 v15, s5
	v_add_co_u32_e32 v13, vcc, s4, v13
	v_addc_co_u32_e32 v14, vcc, v15, v14, vcc
	global_load_dwordx4 v[13:16], v[13:14], off
	ds_write2_b64 v46, v[8:9], v[10:11] offset1:1
	ds_write_b128 v12, v[0:3] offset:31104
	ds_read_b128 v[0:3], v48
	ds_read_b128 v[8:11], v12 offset:27216
	v_add_u32_e32 v42, 0x2d9, v38
	v_mov_b32_e32 v25, s5
	s_waitcnt lgkmcnt(0)
	v_add_f64 v[17:18], v[0:1], -v[8:9]
	v_add_f64 v[19:20], v[2:3], v[10:11]
	v_add_f64 v[2:3], v[2:3], -v[10:11]
	v_add_f64 v[0:1], v[0:1], v[8:9]
	v_mul_f64 v[10:11], v[17:18], 0.5
	v_mul_f64 v[17:18], v[19:20], 0.5
	;; [unrolled: 1-line block ×3, first 2 shown]
	v_lshlrev_b64 v[19:20], 4, v[42:43]
	s_waitcnt vmcnt(1)
	v_mul_f64 v[8:9], v[10:11], v[6:7]
	v_fma_f64 v[21:22], v[17:18], v[6:7], v[2:3]
	v_fma_f64 v[6:7], v[17:18], v[6:7], -v[2:3]
	v_fma_f64 v[23:24], v[0:1], 0.5, v[8:9]
	v_fma_f64 v[8:9], v[0:1], 0.5, -v[8:9]
	v_add_co_u32_e32 v0, vcc, s4, v19
	v_addc_co_u32_e32 v1, vcc, v25, v20, vcc
	global_load_dwordx4 v[0:3], v[0:1], off
	v_fma_f64 v[19:20], -v[4:5], v[10:11], v[21:22]
	v_fma_f64 v[6:7], -v[4:5], v[10:11], v[6:7]
	v_fma_f64 v[10:11], v[17:18], v[4:5], v[23:24]
	v_fma_f64 v[4:5], -v[17:18], v[4:5], v[8:9]
	ds_write_b64 v48, v[19:20] offset:8
	ds_write_b64 v12, v[6:7] offset:27224
	ds_write_b64 v48, v[10:11]
	ds_write_b64 v12, v[4:5] offset:27216
	ds_read_b128 v[4:7], v47
	ds_read_b128 v[8:11], v12 offset:23328
	s_waitcnt lgkmcnt(0)
	v_add_f64 v[17:18], v[4:5], -v[8:9]
	v_add_f64 v[19:20], v[6:7], v[10:11]
	v_add_f64 v[6:7], v[6:7], -v[10:11]
	v_add_f64 v[4:5], v[4:5], v[8:9]
	v_mul_f64 v[10:11], v[17:18], 0.5
	v_mul_f64 v[17:18], v[19:20], 0.5
	;; [unrolled: 1-line block ×3, first 2 shown]
	s_waitcnt vmcnt(1)
	v_mul_f64 v[8:9], v[10:11], v[15:16]
	v_fma_f64 v[19:20], v[17:18], v[15:16], v[6:7]
	v_fma_f64 v[6:7], v[17:18], v[15:16], -v[6:7]
	v_fma_f64 v[15:16], v[4:5], 0.5, v[8:9]
	v_fma_f64 v[4:5], v[4:5], 0.5, -v[8:9]
	v_fma_f64 v[8:9], -v[13:14], v[10:11], v[19:20]
	v_fma_f64 v[6:7], -v[13:14], v[10:11], v[6:7]
	v_fma_f64 v[10:11], v[17:18], v[13:14], v[15:16]
	v_fma_f64 v[4:5], -v[17:18], v[13:14], v[4:5]
	ds_write2_b64 v47, v[10:11], v[8:9] offset1:1
	ds_write_b128 v12, v[4:7] offset:23328
	ds_read_b128 v[4:7], v46 offset:11664
	ds_read_b128 v[8:11], v12 offset:19440
	s_waitcnt lgkmcnt(0)
	v_add_f64 v[13:14], v[4:5], -v[8:9]
	v_add_f64 v[15:16], v[6:7], v[10:11]
	v_add_f64 v[6:7], v[6:7], -v[10:11]
	v_add_f64 v[4:5], v[4:5], v[8:9]
	v_mul_f64 v[10:11], v[13:14], 0.5
	v_mul_f64 v[13:14], v[15:16], 0.5
	;; [unrolled: 1-line block ×3, first 2 shown]
	s_waitcnt vmcnt(0)
	v_mul_f64 v[8:9], v[10:11], v[2:3]
	v_fma_f64 v[15:16], v[13:14], v[2:3], v[6:7]
	v_fma_f64 v[2:3], v[13:14], v[2:3], -v[6:7]
	v_fma_f64 v[6:7], v[4:5], 0.5, v[8:9]
	v_fma_f64 v[4:5], v[4:5], 0.5, -v[8:9]
	v_fma_f64 v[8:9], -v[0:1], v[10:11], v[15:16]
	v_fma_f64 v[2:3], -v[0:1], v[10:11], v[2:3]
	v_fma_f64 v[6:7], v[13:14], v[0:1], v[6:7]
	v_fma_f64 v[0:1], -v[13:14], v[0:1], v[4:5]
	v_add_u32_e32 v4, 0x2800, v46
	ds_write2_b64 v4, v[6:7], v[8:9] offset0:178 offset1:179
	ds_write_b128 v12, v[0:3] offset:19440
	s_waitcnt lgkmcnt(0)
	s_barrier
	s_and_saveexec_b64 s[2:3], s[0:1]
	s_cbranch_execz .LBB0_38
; %bb.36:
	v_mov_b32_e32 v39, v43
	ds_read_b128 v[2:5], v46
	ds_read_b128 v[6:9], v46 offset:3888
	v_mov_b32_e32 v0, s13
	v_add_co_u32_e32 v1, vcc, s12, v40
	v_lshlrev_b64 v[10:11], 4, v[38:39]
	v_addc_co_u32_e32 v0, vcc, v0, v41, vcc
	v_add_co_u32_e32 v10, vcc, v1, v10
	v_addc_co_u32_e32 v11, vcc, v0, v11, vcc
	s_waitcnt lgkmcnt(1)
	global_store_dwordx4 v[10:11], v[2:5], off
	s_waitcnt lgkmcnt(0)
	global_store_dwordx4 v[10:11], v[6:9], off offset:3888
	ds_read_b128 v[2:5], v46 offset:7776
	ds_read_b128 v[6:9], v46 offset:11664
	v_add_co_u32_e32 v12, vcc, 0x1000, v10
	v_addc_co_u32_e32 v13, vcc, 0, v11, vcc
	s_waitcnt lgkmcnt(1)
	global_store_dwordx4 v[12:13], v[2:5], off offset:3680
	s_movk_i32 s0, 0xf2
	v_add_co_u32_e32 v2, vcc, 0x2000, v10
	v_addc_co_u32_e32 v3, vcc, 0, v11, vcc
	s_waitcnt lgkmcnt(0)
	global_store_dwordx4 v[2:3], v[6:9], off offset:3472
	ds_read_b128 v[2:5], v46 offset:15552
	ds_read_b128 v[6:9], v46 offset:19440
	v_add_co_u32_e32 v12, vcc, 0x3000, v10
	v_addc_co_u32_e32 v13, vcc, 0, v11, vcc
	s_waitcnt lgkmcnt(1)
	global_store_dwordx4 v[12:13], v[2:5], off offset:3264
	s_nop 0
	v_add_co_u32_e32 v2, vcc, 0x4000, v10
	v_addc_co_u32_e32 v3, vcc, 0, v11, vcc
	s_waitcnt lgkmcnt(0)
	global_store_dwordx4 v[2:3], v[6:9], off offset:3056
	ds_read_b128 v[2:5], v46 offset:23328
	ds_read_b128 v[6:9], v46 offset:27216
	v_add_co_u32_e32 v12, vcc, 0x5000, v10
	v_addc_co_u32_e32 v13, vcc, 0, v11, vcc
	s_waitcnt lgkmcnt(1)
	global_store_dwordx4 v[12:13], v[2:5], off offset:2848
	s_nop 0
	v_add_co_u32_e32 v2, vcc, 0x6000, v10
	v_addc_co_u32_e32 v3, vcc, 0, v11, vcc
	v_cmp_eq_u32_e32 vcc, s0, v38
	s_waitcnt lgkmcnt(0)
	global_store_dwordx4 v[2:3], v[6:9], off offset:2640
	s_and_b64 exec, exec, vcc
	s_cbranch_execz .LBB0_38
; %bb.37:
	v_mov_b32_e32 v2, 0
	ds_read_b128 v[2:5], v2 offset:31104
	v_add_co_u32_e32 v6, vcc, 0x7000, v1
	v_addc_co_u32_e32 v7, vcc, 0, v0, vcc
	s_waitcnt lgkmcnt(0)
	global_store_dwordx4 v[6:7], v[2:5], off offset:2432
.LBB0_38:
	s_endpgm
	.section	.rodata,"a",@progbits
	.p2align	6, 0x0
	.amdhsa_kernel fft_rtc_back_len1944_factors_3_3_3_3_8_3_wgs_243_tpt_243_halfLds_dp_ip_CI_unitstride_sbrr_R2C_dirReg
		.amdhsa_group_segment_fixed_size 0
		.amdhsa_private_segment_fixed_size 0
		.amdhsa_kernarg_size 88
		.amdhsa_user_sgpr_count 6
		.amdhsa_user_sgpr_private_segment_buffer 1
		.amdhsa_user_sgpr_dispatch_ptr 0
		.amdhsa_user_sgpr_queue_ptr 0
		.amdhsa_user_sgpr_kernarg_segment_ptr 1
		.amdhsa_user_sgpr_dispatch_id 0
		.amdhsa_user_sgpr_flat_scratch_init 0
		.amdhsa_user_sgpr_private_segment_size 0
		.amdhsa_uses_dynamic_stack 0
		.amdhsa_system_sgpr_private_segment_wavefront_offset 0
		.amdhsa_system_sgpr_workgroup_id_x 1
		.amdhsa_system_sgpr_workgroup_id_y 0
		.amdhsa_system_sgpr_workgroup_id_z 0
		.amdhsa_system_sgpr_workgroup_info 0
		.amdhsa_system_vgpr_workitem_id 0
		.amdhsa_next_free_vgpr 83
		.amdhsa_next_free_sgpr 22
		.amdhsa_reserve_vcc 1
		.amdhsa_reserve_flat_scratch 0
		.amdhsa_float_round_mode_32 0
		.amdhsa_float_round_mode_16_64 0
		.amdhsa_float_denorm_mode_32 3
		.amdhsa_float_denorm_mode_16_64 3
		.amdhsa_dx10_clamp 1
		.amdhsa_ieee_mode 1
		.amdhsa_fp16_overflow 0
		.amdhsa_exception_fp_ieee_invalid_op 0
		.amdhsa_exception_fp_denorm_src 0
		.amdhsa_exception_fp_ieee_div_zero 0
		.amdhsa_exception_fp_ieee_overflow 0
		.amdhsa_exception_fp_ieee_underflow 0
		.amdhsa_exception_fp_ieee_inexact 0
		.amdhsa_exception_int_div_zero 0
	.end_amdhsa_kernel
	.text
.Lfunc_end0:
	.size	fft_rtc_back_len1944_factors_3_3_3_3_8_3_wgs_243_tpt_243_halfLds_dp_ip_CI_unitstride_sbrr_R2C_dirReg, .Lfunc_end0-fft_rtc_back_len1944_factors_3_3_3_3_8_3_wgs_243_tpt_243_halfLds_dp_ip_CI_unitstride_sbrr_R2C_dirReg
                                        ; -- End function
	.section	.AMDGPU.csdata,"",@progbits
; Kernel info:
; codeLenInByte = 8176
; NumSgprs: 26
; NumVgprs: 83
; ScratchSize: 0
; MemoryBound: 0
; FloatMode: 240
; IeeeMode: 1
; LDSByteSize: 0 bytes/workgroup (compile time only)
; SGPRBlocks: 3
; VGPRBlocks: 20
; NumSGPRsForWavesPerEU: 26
; NumVGPRsForWavesPerEU: 83
; Occupancy: 3
; WaveLimiterHint : 1
; COMPUTE_PGM_RSRC2:SCRATCH_EN: 0
; COMPUTE_PGM_RSRC2:USER_SGPR: 6
; COMPUTE_PGM_RSRC2:TRAP_HANDLER: 0
; COMPUTE_PGM_RSRC2:TGID_X_EN: 1
; COMPUTE_PGM_RSRC2:TGID_Y_EN: 0
; COMPUTE_PGM_RSRC2:TGID_Z_EN: 0
; COMPUTE_PGM_RSRC2:TIDIG_COMP_CNT: 0
	.type	__hip_cuid_a16bb7abcada6a85,@object ; @__hip_cuid_a16bb7abcada6a85
	.section	.bss,"aw",@nobits
	.globl	__hip_cuid_a16bb7abcada6a85
__hip_cuid_a16bb7abcada6a85:
	.byte	0                               ; 0x0
	.size	__hip_cuid_a16bb7abcada6a85, 1

	.ident	"AMD clang version 19.0.0git (https://github.com/RadeonOpenCompute/llvm-project roc-6.4.0 25133 c7fe45cf4b819c5991fe208aaa96edf142730f1d)"
	.section	".note.GNU-stack","",@progbits
	.addrsig
	.addrsig_sym __hip_cuid_a16bb7abcada6a85
	.amdgpu_metadata
---
amdhsa.kernels:
  - .args:
      - .actual_access:  read_only
        .address_space:  global
        .offset:         0
        .size:           8
        .value_kind:     global_buffer
      - .offset:         8
        .size:           8
        .value_kind:     by_value
      - .actual_access:  read_only
        .address_space:  global
        .offset:         16
        .size:           8
        .value_kind:     global_buffer
      - .actual_access:  read_only
        .address_space:  global
        .offset:         24
        .size:           8
        .value_kind:     global_buffer
      - .offset:         32
        .size:           8
        .value_kind:     by_value
      - .actual_access:  read_only
        .address_space:  global
        .offset:         40
        .size:           8
        .value_kind:     global_buffer
      - .actual_access:  read_only
        .address_space:  global
        .offset:         48
        .size:           8
        .value_kind:     global_buffer
      - .offset:         56
        .size:           4
        .value_kind:     by_value
      - .actual_access:  read_only
        .address_space:  global
        .offset:         64
        .size:           8
        .value_kind:     global_buffer
      - .actual_access:  read_only
        .address_space:  global
        .offset:         72
        .size:           8
        .value_kind:     global_buffer
      - .address_space:  global
        .offset:         80
        .size:           8
        .value_kind:     global_buffer
    .group_segment_fixed_size: 0
    .kernarg_segment_align: 8
    .kernarg_segment_size: 88
    .language:       OpenCL C
    .language_version:
      - 2
      - 0
    .max_flat_workgroup_size: 243
    .name:           fft_rtc_back_len1944_factors_3_3_3_3_8_3_wgs_243_tpt_243_halfLds_dp_ip_CI_unitstride_sbrr_R2C_dirReg
    .private_segment_fixed_size: 0
    .sgpr_count:     26
    .sgpr_spill_count: 0
    .symbol:         fft_rtc_back_len1944_factors_3_3_3_3_8_3_wgs_243_tpt_243_halfLds_dp_ip_CI_unitstride_sbrr_R2C_dirReg.kd
    .uniform_work_group_size: 1
    .uses_dynamic_stack: false
    .vgpr_count:     83
    .vgpr_spill_count: 0
    .wavefront_size: 64
amdhsa.target:   amdgcn-amd-amdhsa--gfx906
amdhsa.version:
  - 1
  - 2
...

	.end_amdgpu_metadata
